;; amdgpu-corpus repo=ROCm/rocFFT kind=compiled arch=gfx1030 opt=O3
	.text
	.amdgcn_target "amdgcn-amd-amdhsa--gfx1030"
	.amdhsa_code_object_version 6
	.protected	fft_rtc_back_len1890_factors_2_3_3_3_7_5_wgs_126_tpt_126_halfLds_sp_op_CI_CI_unitstride_sbrr_C2R_dirReg ; -- Begin function fft_rtc_back_len1890_factors_2_3_3_3_7_5_wgs_126_tpt_126_halfLds_sp_op_CI_CI_unitstride_sbrr_C2R_dirReg
	.globl	fft_rtc_back_len1890_factors_2_3_3_3_7_5_wgs_126_tpt_126_halfLds_sp_op_CI_CI_unitstride_sbrr_C2R_dirReg
	.p2align	8
	.type	fft_rtc_back_len1890_factors_2_3_3_3_7_5_wgs_126_tpt_126_halfLds_sp_op_CI_CI_unitstride_sbrr_C2R_dirReg,@function
fft_rtc_back_len1890_factors_2_3_3_3_7_5_wgs_126_tpt_126_halfLds_sp_op_CI_CI_unitstride_sbrr_C2R_dirReg: ; @fft_rtc_back_len1890_factors_2_3_3_3_7_5_wgs_126_tpt_126_halfLds_sp_op_CI_CI_unitstride_sbrr_C2R_dirReg
; %bb.0:
	s_clause 0x2
	s_load_dwordx4 s[12:15], s[4:5], 0x0
	s_load_dwordx4 s[8:11], s[4:5], 0x58
	;; [unrolled: 1-line block ×3, first 2 shown]
	v_mul_u32_u24_e32 v1, 0x209, v0
	v_mov_b32_e32 v3, 0
	v_add_nc_u32_sdwa v5, s6, v1 dst_sel:DWORD dst_unused:UNUSED_PAD src0_sel:DWORD src1_sel:WORD_1
	v_mov_b32_e32 v1, 0
	v_mov_b32_e32 v6, v3
	v_mov_b32_e32 v2, 0
	s_waitcnt lgkmcnt(0)
	v_cmp_lt_u64_e64 s0, s[14:15], 2
	s_and_b32 vcc_lo, exec_lo, s0
	s_cbranch_vccnz .LBB0_8
; %bb.1:
	s_load_dwordx2 s[0:1], s[4:5], 0x10
	v_mov_b32_e32 v1, 0
	v_mov_b32_e32 v2, 0
	s_add_u32 s2, s18, 8
	s_addc_u32 s3, s19, 0
	s_add_u32 s6, s16, 8
	s_addc_u32 s7, s17, 0
	v_mov_b32_e32 v31, v2
	v_mov_b32_e32 v30, v1
	s_mov_b64 s[22:23], 1
	s_waitcnt lgkmcnt(0)
	s_add_u32 s20, s0, 8
	s_addc_u32 s21, s1, 0
.LBB0_2:                                ; =>This Inner Loop Header: Depth=1
	s_load_dwordx2 s[24:25], s[20:21], 0x0
                                        ; implicit-def: $vgpr34_vgpr35
	s_mov_b32 s0, exec_lo
	s_waitcnt lgkmcnt(0)
	v_or_b32_e32 v4, s25, v6
	v_cmpx_ne_u64_e32 0, v[3:4]
	s_xor_b32 s1, exec_lo, s0
	s_cbranch_execz .LBB0_4
; %bb.3:                                ;   in Loop: Header=BB0_2 Depth=1
	v_cvt_f32_u32_e32 v4, s24
	v_cvt_f32_u32_e32 v7, s25
	s_sub_u32 s0, 0, s24
	s_subb_u32 s26, 0, s25
	v_fmac_f32_e32 v4, 0x4f800000, v7
	v_rcp_f32_e32 v4, v4
	v_mul_f32_e32 v4, 0x5f7ffffc, v4
	v_mul_f32_e32 v7, 0x2f800000, v4
	v_trunc_f32_e32 v7, v7
	v_fmac_f32_e32 v4, 0xcf800000, v7
	v_cvt_u32_f32_e32 v7, v7
	v_cvt_u32_f32_e32 v4, v4
	v_mul_lo_u32 v8, s0, v7
	v_mul_hi_u32 v9, s0, v4
	v_mul_lo_u32 v10, s26, v4
	v_add_nc_u32_e32 v8, v9, v8
	v_mul_lo_u32 v9, s0, v4
	v_add_nc_u32_e32 v8, v8, v10
	v_mul_hi_u32 v10, v4, v9
	v_mul_lo_u32 v11, v4, v8
	v_mul_hi_u32 v12, v4, v8
	v_mul_hi_u32 v13, v7, v9
	v_mul_lo_u32 v9, v7, v9
	v_mul_hi_u32 v14, v7, v8
	v_mul_lo_u32 v8, v7, v8
	v_add_co_u32 v10, vcc_lo, v10, v11
	v_add_co_ci_u32_e32 v11, vcc_lo, 0, v12, vcc_lo
	v_add_co_u32 v9, vcc_lo, v10, v9
	v_add_co_ci_u32_e32 v9, vcc_lo, v11, v13, vcc_lo
	v_add_co_ci_u32_e32 v10, vcc_lo, 0, v14, vcc_lo
	v_add_co_u32 v8, vcc_lo, v9, v8
	v_add_co_ci_u32_e32 v9, vcc_lo, 0, v10, vcc_lo
	v_add_co_u32 v4, vcc_lo, v4, v8
	v_add_co_ci_u32_e32 v7, vcc_lo, v7, v9, vcc_lo
	v_mul_hi_u32 v8, s0, v4
	v_mul_lo_u32 v10, s26, v4
	v_mul_lo_u32 v9, s0, v7
	v_add_nc_u32_e32 v8, v8, v9
	v_mul_lo_u32 v9, s0, v4
	v_add_nc_u32_e32 v8, v8, v10
	v_mul_hi_u32 v10, v4, v9
	v_mul_lo_u32 v11, v4, v8
	v_mul_hi_u32 v12, v4, v8
	v_mul_hi_u32 v13, v7, v9
	v_mul_lo_u32 v9, v7, v9
	v_mul_hi_u32 v14, v7, v8
	v_mul_lo_u32 v8, v7, v8
	v_add_co_u32 v10, vcc_lo, v10, v11
	v_add_co_ci_u32_e32 v11, vcc_lo, 0, v12, vcc_lo
	v_add_co_u32 v9, vcc_lo, v10, v9
	v_add_co_ci_u32_e32 v9, vcc_lo, v11, v13, vcc_lo
	v_add_co_ci_u32_e32 v10, vcc_lo, 0, v14, vcc_lo
	v_add_co_u32 v8, vcc_lo, v9, v8
	v_add_co_ci_u32_e32 v9, vcc_lo, 0, v10, vcc_lo
	v_add_co_u32 v4, vcc_lo, v4, v8
	v_add_co_ci_u32_e32 v11, vcc_lo, v7, v9, vcc_lo
	v_mul_hi_u32 v13, v5, v4
	v_mad_u64_u32 v[9:10], null, v6, v4, 0
	v_mad_u64_u32 v[7:8], null, v5, v11, 0
	;; [unrolled: 1-line block ×3, first 2 shown]
	v_add_co_u32 v4, vcc_lo, v13, v7
	v_add_co_ci_u32_e32 v7, vcc_lo, 0, v8, vcc_lo
	v_add_co_u32 v4, vcc_lo, v4, v9
	v_add_co_ci_u32_e32 v4, vcc_lo, v7, v10, vcc_lo
	v_add_co_ci_u32_e32 v7, vcc_lo, 0, v12, vcc_lo
	v_add_co_u32 v4, vcc_lo, v4, v11
	v_add_co_ci_u32_e32 v9, vcc_lo, 0, v7, vcc_lo
	v_mul_lo_u32 v10, s25, v4
	v_mad_u64_u32 v[7:8], null, s24, v4, 0
	v_mul_lo_u32 v11, s24, v9
	v_sub_co_u32 v7, vcc_lo, v5, v7
	v_add3_u32 v8, v8, v11, v10
	v_sub_nc_u32_e32 v10, v6, v8
	v_subrev_co_ci_u32_e64 v10, s0, s25, v10, vcc_lo
	v_add_co_u32 v11, s0, v4, 2
	v_add_co_ci_u32_e64 v12, s0, 0, v9, s0
	v_sub_co_u32 v13, s0, v7, s24
	v_sub_co_ci_u32_e32 v8, vcc_lo, v6, v8, vcc_lo
	v_subrev_co_ci_u32_e64 v10, s0, 0, v10, s0
	v_cmp_le_u32_e32 vcc_lo, s24, v13
	v_cmp_eq_u32_e64 s0, s25, v8
	v_cndmask_b32_e64 v13, 0, -1, vcc_lo
	v_cmp_le_u32_e32 vcc_lo, s25, v10
	v_cndmask_b32_e64 v14, 0, -1, vcc_lo
	v_cmp_le_u32_e32 vcc_lo, s24, v7
	;; [unrolled: 2-line block ×3, first 2 shown]
	v_cndmask_b32_e64 v15, 0, -1, vcc_lo
	v_cmp_eq_u32_e32 vcc_lo, s25, v10
	v_cndmask_b32_e64 v7, v15, v7, s0
	v_cndmask_b32_e32 v10, v14, v13, vcc_lo
	v_add_co_u32 v13, vcc_lo, v4, 1
	v_add_co_ci_u32_e32 v14, vcc_lo, 0, v9, vcc_lo
	v_cmp_ne_u32_e32 vcc_lo, 0, v10
	v_cndmask_b32_e32 v8, v14, v12, vcc_lo
	v_cndmask_b32_e32 v10, v13, v11, vcc_lo
	v_cmp_ne_u32_e32 vcc_lo, 0, v7
	v_cndmask_b32_e32 v35, v9, v8, vcc_lo
	v_cndmask_b32_e32 v34, v4, v10, vcc_lo
.LBB0_4:                                ;   in Loop: Header=BB0_2 Depth=1
	s_andn2_saveexec_b32 s0, s1
	s_cbranch_execz .LBB0_6
; %bb.5:                                ;   in Loop: Header=BB0_2 Depth=1
	v_cvt_f32_u32_e32 v4, s24
	s_sub_i32 s1, 0, s24
	v_mov_b32_e32 v35, v3
	v_rcp_iflag_f32_e32 v4, v4
	v_mul_f32_e32 v4, 0x4f7ffffe, v4
	v_cvt_u32_f32_e32 v4, v4
	v_mul_lo_u32 v7, s1, v4
	v_mul_hi_u32 v7, v4, v7
	v_add_nc_u32_e32 v4, v4, v7
	v_mul_hi_u32 v4, v5, v4
	v_mul_lo_u32 v7, v4, s24
	v_add_nc_u32_e32 v8, 1, v4
	v_sub_nc_u32_e32 v7, v5, v7
	v_subrev_nc_u32_e32 v9, s24, v7
	v_cmp_le_u32_e32 vcc_lo, s24, v7
	v_cndmask_b32_e32 v7, v7, v9, vcc_lo
	v_cndmask_b32_e32 v4, v4, v8, vcc_lo
	v_cmp_le_u32_e32 vcc_lo, s24, v7
	v_add_nc_u32_e32 v8, 1, v4
	v_cndmask_b32_e32 v34, v4, v8, vcc_lo
.LBB0_6:                                ;   in Loop: Header=BB0_2 Depth=1
	s_or_b32 exec_lo, exec_lo, s0
	v_mul_lo_u32 v4, v35, s24
	v_mul_lo_u32 v9, v34, s25
	s_load_dwordx2 s[0:1], s[6:7], 0x0
	v_mad_u64_u32 v[7:8], null, v34, s24, 0
	s_load_dwordx2 s[24:25], s[2:3], 0x0
	s_add_u32 s22, s22, 1
	s_addc_u32 s23, s23, 0
	s_add_u32 s2, s2, 8
	s_addc_u32 s3, s3, 0
	s_add_u32 s6, s6, 8
	v_add3_u32 v4, v8, v9, v4
	v_sub_co_u32 v5, vcc_lo, v5, v7
	s_addc_u32 s7, s7, 0
	s_add_u32 s20, s20, 8
	v_sub_co_ci_u32_e32 v4, vcc_lo, v6, v4, vcc_lo
	s_addc_u32 s21, s21, 0
	s_waitcnt lgkmcnt(0)
	v_mul_lo_u32 v6, s0, v4
	v_mul_lo_u32 v7, s1, v5
	v_mad_u64_u32 v[1:2], null, s0, v5, v[1:2]
	v_mul_lo_u32 v4, s24, v4
	v_mul_lo_u32 v8, s25, v5
	v_mad_u64_u32 v[30:31], null, s24, v5, v[30:31]
	v_cmp_ge_u64_e64 s0, s[22:23], s[14:15]
	v_add3_u32 v2, v7, v2, v6
	v_add3_u32 v31, v8, v31, v4
	s_and_b32 vcc_lo, exec_lo, s0
	s_cbranch_vccnz .LBB0_9
; %bb.7:                                ;   in Loop: Header=BB0_2 Depth=1
	v_mov_b32_e32 v5, v34
	v_mov_b32_e32 v6, v35
	s_branch .LBB0_2
.LBB0_8:
	v_mov_b32_e32 v31, v2
	v_mov_b32_e32 v35, v6
	;; [unrolled: 1-line block ×4, first 2 shown]
.LBB0_9:
	s_load_dwordx2 s[0:1], s[4:5], 0x28
	v_mul_hi_u32 v3, 0x2082083, v0
	s_lshl_b64 s[4:5], s[14:15], 3
                                        ; implicit-def: $vgpr32
	s_add_u32 s2, s18, s4
	s_addc_u32 s3, s19, s5
	s_waitcnt lgkmcnt(0)
	v_cmp_gt_u64_e32 vcc_lo, s[0:1], v[34:35]
	v_cmp_le_u64_e64 s0, s[0:1], v[34:35]
	s_and_saveexec_b32 s1, s0
	s_xor_b32 s0, exec_lo, s1
; %bb.10:
	v_mul_u32_u24_e32 v1, 0x7e, v3
                                        ; implicit-def: $vgpr3
	v_sub_nc_u32_e32 v32, v0, v1
                                        ; implicit-def: $vgpr0
                                        ; implicit-def: $vgpr1_vgpr2
; %bb.11:
	s_or_saveexec_b32 s1, s0
	s_load_dwordx2 s[2:3], s[2:3], 0x0
	s_xor_b32 exec_lo, exec_lo, s1
	s_cbranch_execz .LBB0_15
; %bb.12:
	s_add_u32 s4, s16, s4
	s_addc_u32 s5, s17, s5
	v_lshlrev_b64 v[1:2], 3, v[1:2]
	s_load_dwordx2 s[4:5], s[4:5], 0x0
	s_waitcnt lgkmcnt(0)
	v_mul_lo_u32 v6, s5, v34
	v_mul_lo_u32 v7, s4, v35
	v_mad_u64_u32 v[4:5], null, s4, v34, 0
	s_mov_b32 s4, exec_lo
	v_add3_u32 v5, v5, v7, v6
	v_mul_u32_u24_e32 v6, 0x7e, v3
	v_lshlrev_b64 v[3:4], 3, v[4:5]
	v_sub_nc_u32_e32 v32, v0, v6
	v_lshlrev_b32_e32 v33, 3, v32
	v_add_co_u32 v0, s0, s8, v3
	v_add_co_ci_u32_e64 v3, s0, s9, v4, s0
	v_add_co_u32 v0, s0, v0, v1
	v_add_co_ci_u32_e64 v1, s0, v3, v2, s0
	;; [unrolled: 2-line block ×3, first 2 shown]
	v_add_nc_u32_e32 v33, 0, v33
	v_add_co_u32 v4, s0, 0x800, v2
	v_add_co_ci_u32_e64 v5, s0, 0, v3, s0
	v_add_co_u32 v6, s0, 0x1000, v2
	v_add_co_ci_u32_e64 v7, s0, 0, v3, s0
	;; [unrolled: 2-line block ×6, first 2 shown]
	s_clause 0xe
	global_load_dwordx2 v[16:17], v[2:3], off
	global_load_dwordx2 v[18:19], v[2:3], off offset:1008
	global_load_dwordx2 v[2:3], v[2:3], off offset:2016
	;; [unrolled: 1-line block ×14, first 2 shown]
	v_add_nc_u32_e32 v38, 0x400, v33
	v_add_nc_u32_e32 v39, 0xc00, v33
	;; [unrolled: 1-line block ×6, first 2 shown]
	s_waitcnt vmcnt(13)
	ds_write2_b64 v33, v[16:17], v[18:19] offset1:126
	s_waitcnt vmcnt(11)
	ds_write2_b64 v38, v[2:3], v[20:21] offset0:124 offset1:250
	s_waitcnt vmcnt(9)
	ds_write2_b64 v39, v[4:5], v[22:23] offset0:120 offset1:246
	;; [unrolled: 2-line block ×6, first 2 shown]
	s_waitcnt vmcnt(0)
	ds_write_b64 v33, v[14:15] offset:14112
	v_cmpx_eq_u32_e32 0x7d, v32
	s_cbranch_execz .LBB0_14
; %bb.13:
	v_add_co_u32 v0, s0, 0x3800, v0
	v_add_co_ci_u32_e64 v1, s0, 0, v1, s0
	v_mov_b32_e32 v2, 0
	v_mov_b32_e32 v32, 0x7d
	global_load_dwordx2 v[0:1], v[0:1], off offset:784
	s_waitcnt vmcnt(0)
	ds_write_b64 v2, v[0:1] offset:15120
.LBB0_14:
	s_or_b32 exec_lo, exec_lo, s4
.LBB0_15:
	s_or_b32 exec_lo, exec_lo, s1
	v_lshlrev_b32_e32 v4, 3, v32
	s_waitcnt lgkmcnt(0)
	s_barrier
	buffer_gl0_inv
	s_add_u32 s1, s12, 0x3b00
	v_add_nc_u32_e32 v48, 0, v4
	v_sub_nc_u32_e32 v5, 0, v4
	s_addc_u32 s4, s13, 0
	s_mov_b32 s5, exec_lo
                                        ; implicit-def: $vgpr0_vgpr1
	ds_read_b32 v6, v48
	ds_read_b32 v7, v5 offset:15120
	s_waitcnt lgkmcnt(0)
	v_add_f32_e32 v2, v7, v6
	v_sub_f32_e32 v3, v6, v7
	v_cmpx_ne_u32_e32 0, v32
	s_xor_b32 s5, exec_lo, s5
	s_cbranch_execz .LBB0_17
; %bb.16:
	v_mov_b32_e32 v33, 0
	v_add_f32_e32 v8, v7, v6
	v_sub_f32_e32 v9, v6, v7
	v_lshlrev_b64 v[0:1], 3, v[32:33]
	v_add_co_u32 v0, s0, s1, v0
	v_add_co_ci_u32_e64 v1, s0, s4, v1, s0
	global_load_dwordx2 v[0:1], v[0:1], off
	ds_read_b32 v2, v5 offset:15124
	ds_read_b32 v3, v48 offset:4
	s_waitcnt lgkmcnt(0)
	v_add_f32_e32 v10, v2, v3
	v_sub_f32_e32 v2, v3, v2
	s_waitcnt vmcnt(0)
	v_fma_f32 v6, -v9, v1, v8
	v_fma_f32 v7, v10, v1, -v2
	v_fma_f32 v11, v9, v1, v8
	v_fma_f32 v3, v10, v1, v2
	v_fmac_f32_e32 v6, v0, v10
	v_fmac_f32_e32 v7, v9, v0
	v_fma_f32 v2, -v0, v10, v11
	v_fmac_f32_e32 v3, v9, v0
	v_mov_b32_e32 v0, v32
	v_mov_b32_e32 v1, v33
	ds_write_b64 v5, v[6:7] offset:15120
.LBB0_17:
	s_andn2_saveexec_b32 s0, s5
	s_cbranch_execz .LBB0_19
; %bb.18:
	v_mov_b32_e32 v8, 0
	ds_read_b64 v[0:1], v8 offset:7560
	s_waitcnt lgkmcnt(0)
	v_add_f32_e32 v6, v0, v0
	v_mul_f32_e32 v7, -2.0, v1
	v_mov_b32_e32 v0, 0
	v_mov_b32_e32 v1, 0
	ds_write_b64 v8, v[6:7] offset:7560
.LBB0_19:
	s_or_b32 exec_lo, exec_lo, s0
	v_lshlrev_b64 v[0:1], 3, v[0:1]
	v_add_co_u32 v0, s0, s1, v0
	v_add_co_ci_u32_e64 v1, s0, s4, v1, s0
	s_clause 0x1
	global_load_dwordx2 v[6:7], v[0:1], off offset:1008
	global_load_dwordx2 v[8:9], v[0:1], off offset:2016
	v_add_co_u32 v10, s0, 0x800, v0
	v_add_co_ci_u32_e64 v11, s0, 0, v1, s0
	s_clause 0x1
	global_load_dwordx2 v[12:13], v[10:11], off offset:976
	global_load_dwordx2 v[10:11], v[10:11], off offset:1984
	;; [unrolled: 5-line block ×3, first 2 shown]
	ds_write_b64 v48, v[2:3]
	ds_read_b64 v[2:3], v48 offset:1008
	ds_read_b64 v[18:19], v5 offset:14112
	v_cmp_gt_u32_e64 s0, 63, v32
	s_waitcnt lgkmcnt(0)
	v_add_f32_e32 v20, v2, v18
	v_add_f32_e32 v21, v19, v3
	v_sub_f32_e32 v22, v2, v18
	v_sub_f32_e32 v2, v3, v19
	s_waitcnt vmcnt(5)
	v_fma_f32 v23, v22, v7, v20
	v_fma_f32 v3, v21, v7, v2
	v_fma_f32 v18, -v22, v7, v20
	v_fma_f32 v19, v21, v7, -v2
	v_fma_f32 v2, -v6, v21, v23
	v_fmac_f32_e32 v3, v22, v6
	v_fmac_f32_e32 v18, v6, v21
	v_fmac_f32_e32 v19, v22, v6
	ds_write_b64 v48, v[2:3] offset:1008
	ds_write_b64 v5, v[18:19] offset:14112
	ds_read_b64 v[2:3], v48 offset:2016
	ds_read_b64 v[6:7], v5 offset:13104
	s_waitcnt lgkmcnt(0)
	v_add_f32_e32 v18, v2, v6
	v_add_f32_e32 v19, v7, v3
	v_sub_f32_e32 v20, v2, v6
	v_sub_f32_e32 v2, v3, v7
	s_waitcnt vmcnt(4)
	v_fma_f32 v21, v20, v9, v18
	v_fma_f32 v3, v19, v9, v2
	v_fma_f32 v6, -v20, v9, v18
	v_fma_f32 v7, v19, v9, -v2
	v_fma_f32 v2, -v8, v19, v21
	v_fmac_f32_e32 v3, v20, v8
	v_fmac_f32_e32 v6, v8, v19
	v_fmac_f32_e32 v7, v20, v8
	ds_write_b64 v48, v[2:3] offset:2016
	ds_write_b64 v5, v[6:7] offset:13104
	ds_read_b64 v[2:3], v48 offset:3024
	ds_read_b64 v[6:7], v5 offset:12096
	;; [unrolled: 18-line block ×5, first 2 shown]
	s_waitcnt lgkmcnt(0)
	v_add_f32_e32 v8, v2, v6
	v_add_f32_e32 v9, v7, v3
	v_sub_f32_e32 v10, v2, v6
	v_sub_f32_e32 v2, v3, v7
	s_waitcnt vmcnt(0)
	v_fma_f32 v11, v10, v15, v8
	v_fma_f32 v3, v9, v15, v2
	v_fma_f32 v6, -v10, v15, v8
	v_fma_f32 v7, v9, v15, -v2
	v_fma_f32 v2, -v14, v9, v11
	v_fmac_f32_e32 v3, v10, v14
	v_fmac_f32_e32 v6, v14, v9
	;; [unrolled: 1-line block ×3, first 2 shown]
	ds_write_b64 v48, v[2:3] offset:6048
	ds_write_b64 v5, v[6:7] offset:9072
	s_and_saveexec_b32 s4, s0
	s_cbranch_execz .LBB0_21
; %bb.20:
	v_add_co_u32 v0, s1, 0x1800, v0
	v_add_co_ci_u32_e64 v1, s1, 0, v1, s1
	global_load_dwordx2 v[0:1], v[0:1], off offset:912
	ds_read_b64 v[2:3], v48 offset:7056
	ds_read_b64 v[6:7], v5 offset:8064
	s_waitcnt lgkmcnt(0)
	v_add_f32_e32 v8, v2, v6
	v_add_f32_e32 v9, v7, v3
	v_sub_f32_e32 v10, v2, v6
	v_sub_f32_e32 v3, v3, v7
	s_waitcnt vmcnt(0)
	v_fma_f32 v11, v10, v1, v8
	v_fma_f32 v2, v9, v1, v3
	v_fma_f32 v6, -v10, v1, v8
	v_fma_f32 v7, v9, v1, -v3
	v_fma_f32 v1, -v0, v9, v11
	v_fmac_f32_e32 v2, v10, v0
	v_fmac_f32_e32 v6, v0, v9
	;; [unrolled: 1-line block ×3, first 2 shown]
	ds_write_b64 v48, v[1:2] offset:7056
	ds_write_b64 v5, v[6:7] offset:8064
.LBB0_21:
	s_or_b32 exec_lo, exec_lo, s4
	v_add_nc_u32_e32 v38, 0x1c00, v48
	s_waitcnt lgkmcnt(0)
	s_barrier
	buffer_gl0_inv
	s_barrier
	buffer_gl0_inv
	ds_read2_b64 v[6:9], v48 offset1:126
	ds_read2_b64 v[10:13], v38 offset0:49 offset1:175
	v_add_nc_u32_e32 v39, 0x400, v48
	v_add_nc_u32_e32 v42, 0x2400, v48
	;; [unrolled: 1-line block ×6, first 2 shown]
	ds_read2_b64 v[14:17], v39 offset0:124 offset1:250
	ds_read2_b64 v[18:21], v42 offset0:45 offset1:171
	ds_read2_b64 v[22:25], v41 offset0:120 offset1:246
	ds_read2_b64 v[26:29], v40 offset0:41 offset1:167
	ds_read2_b64 v[0:3], v5 offset0:116 offset1:242
	ds_read2_b64 v[50:53], v36 offset0:37 offset1:163
	v_add_nc_u32_e32 v49, 0x7e, v32
	v_add_nc_u32_e32 v43, v48, v4
	;; [unrolled: 1-line block ×5, first 2 shown]
	s_waitcnt lgkmcnt(0)
	s_barrier
	buffer_gl0_inv
	v_sub_f32_e32 v10, v6, v10
	v_sub_f32_e32 v11, v7, v11
	;; [unrolled: 1-line block ×4, first 2 shown]
	v_fma_f32 v6, v6, 2.0, -v10
	v_fma_f32 v7, v7, 2.0, -v11
	v_sub_f32_e32 v18, v14, v18
	v_sub_f32_e32 v19, v15, v19
	v_fma_f32 v8, v8, 2.0, -v12
	v_fma_f32 v9, v9, 2.0, -v13
	v_sub_f32_e32 v20, v16, v20
	v_sub_f32_e32 v21, v17, v21
	;; [unrolled: 1-line block ×3, first 2 shown]
	v_lshl_add_u32 v50, v49, 4, 0
	v_sub_f32_e32 v26, v22, v26
	v_sub_f32_e32 v27, v23, v27
	;; [unrolled: 1-line block ×4, first 2 shown]
	ds_write2_b64 v43, v[6:7], v[10:11] offset1:1
	v_lshl_add_u32 v6, v32, 4, 0
	v_sub_f32_e32 v47, v1, v51
	v_fma_f32 v14, v14, 2.0, -v18
	v_fma_f32 v15, v15, 2.0, -v19
	v_sub_f32_e32 v36, v2, v52
	v_sub_f32_e32 v37, v3, v53
	v_lshl_add_u32 v7, v33, 4, 0
	v_fma_f32 v16, v16, 2.0, -v20
	v_fma_f32 v17, v17, 2.0, -v21
	ds_write2_b64 v50, v[8:9], v[12:13] offset1:1
	v_lshl_add_u32 v8, v44, 4, 0
	v_fma_f32 v22, v22, 2.0, -v26
	v_fma_f32 v23, v23, 2.0, -v27
	v_lshl_add_u32 v9, v45, 4, 0
	v_fma_f32 v24, v24, 2.0, -v28
	v_fma_f32 v25, v25, 2.0, -v29
	v_add_nc_u32_e32 v10, 0x2760, v6
	v_fma_f32 v0, v0, 2.0, -v46
	v_fma_f32 v1, v1, 2.0, -v47
	v_add_nc_u32_e32 v6, 0x2f40, v6
	ds_write2_b64 v7, v[14:15], v[18:19] offset1:1
	ds_write2_b64 v8, v[16:17], v[20:21] offset1:1
	;; [unrolled: 1-line block ×5, first 2 shown]
	s_and_saveexec_b32 s1, s0
	s_cbranch_execz .LBB0_23
; %bb.22:
	v_fma_f32 v1, v3, 2.0, -v37
	v_fma_f32 v0, v2, 2.0, -v36
	v_add3_u32 v2, v48, v4, 0x3720
	ds_write2_b64 v2, v[0:1], v[36:37] offset1:1
.LBB0_23:
	s_or_b32 exec_lo, exec_lo, s1
	v_and_b32_e32 v47, 1, v32
	s_waitcnt lgkmcnt(0)
	s_barrier
	buffer_gl0_inv
	v_add_nc_u32_e32 v43, 0x3000, v48
	v_lshlrev_b32_e32 v0, 4, v47
	v_lshrrev_b32_e32 v52, 1, v32
	v_lshrrev_b32_e32 v54, 1, v33
	;; [unrolled: 1-line block ×4, first 2 shown]
	global_load_dwordx4 v[12:15], v0, s[12:13]
	ds_read2_b64 v[24:27], v42 offset0:108 offset1:234
	ds_read2_b64 v[16:19], v5 offset0:116 offset1:242
	ds_read2_b64 v[8:11], v48 offset1:126
	ds_read2_b64 v[0:3], v41 offset0:120 offset1:246
	ds_read2_b64 v[4:7], v39 offset0:124 offset1:250
	ds_read2_b32 v[28:29], v40 offset0:208 offset1:209
	ds_read2_b64 v[20:23], v38 offset0:112 offset1:238
	ds_read2_b64 v[59:62], v43 offset0:102 offset1:228
	v_and_b32_e32 v50, 0xff, v32
	v_and_b32_e32 v51, 0xff, v49
	v_mov_b32_e32 v57, 0xaaab
	v_lshrrev_b32_e32 v53, 1, v49
	v_mul_u32_u24_e32 v52, 6, v52
	v_mul_u32_u24_e32 v54, 6, v54
	;; [unrolled: 1-line block ×4, first 2 shown]
	v_mul_lo_u16 v58, 0xab, v50
	v_mul_lo_u16 v63, 0xab, v51
	v_mul_u32_u24_sdwa v64, v33, v57 dst_sel:DWORD dst_unused:UNUSED_PAD src0_sel:WORD_0 src1_sel:DWORD
	v_mul_u32_u24_e32 v53, 6, v53
	v_mul_u32_u24_sdwa v65, v44, v57 dst_sel:DWORD dst_unused:UNUSED_PAD src0_sel:WORD_0 src1_sel:DWORD
	v_mul_u32_u24_sdwa v66, v45, v57 dst_sel:DWORD dst_unused:UNUSED_PAD src0_sel:WORD_0 src1_sel:DWORD
	v_or_b32_e32 v52, v52, v47
	v_or_b32_e32 v57, v54, v47
	;; [unrolled: 1-line block ×4, first 2 shown]
	v_lshrrev_b16 v54, 10, v58
	v_lshrrev_b16 v55, 10, v63
	v_lshrrev_b32_e32 v56, 18, v64
	v_or_b32_e32 v53, v53, v47
	v_lshrrev_b32_e32 v58, 18, v65
	v_lshl_add_u32 v52, v52, 3, 0
	v_mul_lo_u16 v47, v54, 6
	v_mul_lo_u16 v63, v55, 6
	v_lshl_add_u32 v65, v57, 3, 0
	v_mul_lo_u16 v57, v56, 6
	v_lshl_add_u32 v64, v53, 3, 0
	v_mov_b32_e32 v46, 4
	s_waitcnt vmcnt(0) lgkmcnt(0)
	s_barrier
	buffer_gl0_inv
	v_sub_nc_u16 v47, v32, v47
	v_sub_nc_u16 v53, v49, v63
	v_lshl_add_u32 v63, v67, 3, 0
	v_lshl_add_u32 v67, v68, 3, 0
	v_sub_nc_u16 v57, v33, v57
	v_lshlrev_b32_sdwa v68, v46, v47 dst_sel:DWORD dst_unused:UNUSED_PAD src0_sel:DWORD src1_sel:BYTE_0
	v_lshlrev_b32_sdwa v69, v46, v53 dst_sel:DWORD dst_unused:UNUSED_PAD src0_sel:DWORD src1_sel:BYTE_0
	v_cmp_gt_u32_e64 s0, 18, v32
	v_mul_f32_e32 v70, v15, v25
	v_mul_f32_e32 v71, v15, v24
	;; [unrolled: 1-line block ×20, first 2 shown]
	v_fmac_f32_e32 v70, v14, v24
	v_fma_f32 v24, v14, v25, -v71
	v_fmac_f32_e32 v87, v12, v2
	v_fma_f32 v2, v12, v3, -v13
	;; [unrolled: 2-line block ×10, first 2 shown]
	v_add_f32_e32 v3, v87, v70
	v_add_f32_e32 v12, v2, v24
	;; [unrolled: 1-line block ×8, first 2 shown]
	v_sub_f32_e32 v22, v2, v24
	v_sub_f32_e32 v23, v87, v70
	v_add_f32_e32 v26, v10, v74
	v_sub_f32_e32 v28, v16, v25
	v_add_f32_e32 v29, v11, v16
	;; [unrolled: 2-line block ×5, first 2 shown]
	v_add_f32_e32 v17, v7, v18
	v_sub_f32_e32 v77, v18, v20
	v_add_f32_e32 v79, v18, v20
	v_add_f32_e32 v18, v1, v19
	;; [unrolled: 1-line block ×4, first 2 shown]
	v_fma_f32 v2, -0.5, v3, v8
	v_fma_f32 v3, -0.5, v12, v9
	;; [unrolled: 1-line block ×3, first 2 shown]
	v_fmac_f32_e32 v11, -0.5, v59
	v_fma_f32 v4, -0.5, v61, v4
	v_fma_f32 v5, -0.5, v73, v5
	v_add_f32_e32 v75, v6, v78
	v_add_f32_e32 v81, v0, v80
	v_sub_f32_e32 v78, v78, v82
	v_sub_f32_e32 v83, v19, v21
	;; [unrolled: 1-line block ×3, first 2 shown]
	v_add_f32_e32 v8, v13, v70
	v_add_f32_e32 v9, v14, v24
	;; [unrolled: 1-line block ×4, first 2 shown]
	v_fma_f32 v6, -0.5, v76, v6
	v_fmac_f32_e32 v7, -0.5, v79
	v_fma_f32 v0, -0.5, v87, v0
	v_fmac_f32_e32 v1, -0.5, v85
	v_fmamk_f32 v20, v22, 0xbf5db3d7, v2
	v_fmamk_f32 v21, v23, 0x3f5db3d7, v3
	v_fmac_f32_e32 v2, 0x3f5db3d7, v22
	v_fmac_f32_e32 v3, 0xbf5db3d7, v23
	v_add_f32_e32 v12, v26, v72
	v_add_f32_e32 v13, v29, v25
	v_fmamk_f32 v22, v28, 0xbf5db3d7, v10
	v_fmamk_f32 v23, v60, 0x3f5db3d7, v11
	v_fmac_f32_e32 v10, 0x3f5db3d7, v28
	v_fmac_f32_e32 v11, 0xbf5db3d7, v60
	v_add_f32_e32 v14, v16, v86
	v_add_f32_e32 v15, v71, v15
	v_fmamk_f32 v24, v62, 0xbf5db3d7, v4
	v_fmac_f32_e32 v4, 0x3f5db3d7, v62
	v_fmamk_f32 v25, v74, 0x3f5db3d7, v5
	v_fmac_f32_e32 v5, 0xbf5db3d7, v74
	v_add_f32_e32 v16, v75, v82
	v_add_f32_e32 v18, v81, v84
	v_fmamk_f32 v26, v77, 0xbf5db3d7, v6
	v_fmac_f32_e32 v6, 0x3f5db3d7, v77
	v_fmamk_f32 v27, v78, 0x3f5db3d7, v7
	v_fmac_f32_e32 v7, 0xbf5db3d7, v78
	;; [unrolled: 2-line block ×4, first 2 shown]
	ds_write2_b64 v52, v[8:9], v[20:21] offset1:2
	ds_write_b64 v52, v[2:3] offset:32
	ds_write2_b64 v64, v[12:13], v[22:23] offset1:2
	ds_write_b64 v64, v[10:11] offset:32
	;; [unrolled: 2-line block ×5, first 2 shown]
	v_mul_lo_u16 v4, v58, 6
	v_lshrrev_b32_e32 v5, 18, v66
	v_lshlrev_b32_sdwa v6, v46, v57 dst_sel:DWORD dst_unused:UNUSED_PAD src0_sel:DWORD src1_sel:WORD_0
	s_waitcnt lgkmcnt(0)
	s_barrier
	v_sub_nc_u16 v4, v44, v4
	v_mul_lo_u16 v15, v5, 6
	buffer_gl0_inv
	s_clause 0x1
	global_load_dwordx4 v[0:3], v68, s[12:13] offset:32
	global_load_dwordx4 v[11:14], v6, s[12:13] offset:32
	v_lshlrev_b32_sdwa v6, v46, v4 dst_sel:DWORD dst_unused:UNUSED_PAD src0_sel:DWORD src1_sel:WORD_0
	v_sub_nc_u16 v27, v45, v15
	global_load_dwordx4 v[7:10], v69, s[12:13] offset:32
	v_mov_b32_e32 v23, 0xe38f
	v_mul_lo_u16 v25, v51, 57
	global_load_dwordx4 v[15:18], v6, s[12:13] offset:32
	v_lshlrev_b32_sdwa v6, v46, v27 dst_sel:DWORD dst_unused:UNUSED_PAD src0_sel:DWORD src1_sel:WORD_0
	v_mul_lo_u16 v26, v50, 57
	v_mul_u32_u24_sdwa v28, v33, v23 dst_sel:DWORD dst_unused:UNUSED_PAD src0_sel:WORD_0 src1_sel:DWORD
	v_mov_b32_e32 v24, 0x90
	v_mul_u32_u24_sdwa v29, v44, v23 dst_sel:DWORD dst_unused:UNUSED_PAD src0_sel:WORD_0 src1_sel:DWORD
	global_load_dwordx4 v[19:22], v6, s[12:13] offset:32
	v_mul_u32_u24_sdwa v23, v45, v23 dst_sel:DWORD dst_unused:UNUSED_PAD src0_sel:WORD_0 src1_sel:DWORD
	v_lshrrev_b16 v75, 10, v25
	v_lshrrev_b16 v76, 10, v26
	v_lshrrev_b32_e32 v77, 20, v28
	v_mov_b32_e32 v52, 3
	v_lshrrev_b32_e32 v78, 20, v23
	v_mul_u32_u24_sdwa v28, v54, v24 dst_sel:DWORD dst_unused:UNUSED_PAD src0_sel:WORD_0 src1_sel:DWORD
	v_mul_u32_u24_sdwa v59, v55, v24 dst_sel:DWORD dst_unused:UNUSED_PAD src0_sel:WORD_0 src1_sel:DWORD
	v_mul_lo_u16 v23, v75, 18
	v_mul_lo_u16 v24, v76, 18
	;; [unrolled: 1-line block ×3, first 2 shown]
	v_add_nc_u32_e32 v6, 0x1800, v48
	v_mul_u32_u24_e32 v60, 0x90, v56
	v_mul_u32_u24_e32 v61, 0x90, v5
	v_sub_nc_u16 v80, v49, v23
	v_sub_nc_u16 v81, v32, v24
	;; [unrolled: 1-line block ×3, first 2 shown]
	v_lshlrev_b32_sdwa v47, v52, v47 dst_sel:DWORD dst_unused:UNUSED_PAD src0_sel:DWORD src1_sel:BYTE_0
	v_lshlrev_b32_sdwa v62, v52, v53 dst_sel:DWORD dst_unused:UNUSED_PAD src0_sel:DWORD src1_sel:BYTE_0
	v_lshlrev_b32_sdwa v63, v52, v4 dst_sel:DWORD dst_unused:UNUSED_PAD src0_sel:DWORD src1_sel:WORD_0
	ds_read2_b64 v[23:26], v41 offset0:120 offset1:246
	ds_read2_b64 v[53:56], v42 offset0:108 offset1:234
	ds_read_b64 v[4:5], v48 offset:6048
	v_mul_u32_u24_e32 v58, 0x90, v58
	v_lshlrev_b32_sdwa v57, v52, v57 dst_sel:DWORD dst_unused:UNUSED_PAD src0_sel:DWORD src1_sel:WORD_0
	v_lshlrev_b32_sdwa v64, v52, v27 dst_sel:DWORD dst_unused:UNUSED_PAD src0_sel:DWORD src1_sel:WORD_0
	v_add3_u32 v47, 0, v28, v47
	ds_read2_b32 v[27:28], v6 offset0:228 offset1:229
	v_add3_u32 v85, 0, v59, v62
	v_add3_u32 v86, 0, v60, v57
	v_add3_u32 v87, 0, v58, v63
	v_add3_u32 v88, 0, v61, v64
	ds_read2_b64 v[57:60], v40 offset0:104 offset1:230
	ds_read_b64 v[73:74], v48 offset:14112
	ds_read2_b64 v[61:64], v38 offset0:112 offset1:238
	ds_read2_b64 v[65:68], v48 offset1:126
	ds_read2_b64 v[69:72], v39 offset0:124 offset1:250
	v_lshrrev_b32_e32 v29, 20, v29
	s_waitcnt vmcnt(0) lgkmcnt(0)
	s_barrier
	buffer_gl0_inv
	v_lshlrev_b32_sdwa v83, v46, v80 dst_sel:DWORD dst_unused:UNUSED_PAD src0_sel:DWORD src1_sel:BYTE_0
	v_mul_lo_u16 v79, v29, 18
	v_lshlrev_b32_sdwa v84, v46, v81 dst_sel:DWORD dst_unused:UNUSED_PAD src0_sel:DWORD src1_sel:BYTE_0
	v_mul_u32_u24_e32 v29, 0x1b0, v29
	v_mul_f32_e32 v89, v1, v26
	v_mul_f32_e32 v1, v1, v25
	;; [unrolled: 1-line block ×8, first 2 shown]
	v_fmac_f32_e32 v90, v2, v53
	v_fmac_f32_e32 v91, v7, v4
	v_fma_f32 v4, v7, v5, -v8
	v_mul_f32_e32 v5, v28, v12
	v_mul_f32_e32 v7, v12, v27
	v_fmac_f32_e32 v92, v9, v55
	v_fma_f32 v8, v9, v56, -v10
	v_mul_f32_e32 v9, v58, v14
	v_mul_f32_e32 v10, v57, v14
	;; [unrolled: 1-line block ×4, first 2 shown]
	v_fma_f32 v3, v2, v54, -v3
	v_mul_f32_e32 v2, v62, v16
	v_mul_f32_e32 v16, v61, v16
	;; [unrolled: 1-line block ×4, first 2 shown]
	v_fmac_f32_e32 v89, v0, v25
	v_fma_f32 v0, v0, v26, -v1
	v_mul_f32_e32 v1, v73, v22
	v_mul_f32_e32 v25, v74, v22
	v_fmac_f32_e32 v5, v11, v27
	v_fma_f32 v7, v28, v11, -v7
	v_fmac_f32_e32 v9, v57, v13
	v_fma_f32 v10, v58, v13, -v10
	v_fma_f32 v11, v60, v17, -v14
	v_fmac_f32_e32 v2, v61, v15
	v_fma_f32 v13, v62, v15, -v16
	v_fmac_f32_e32 v18, v63, v19
	v_fma_f32 v14, v64, v19, -v20
	v_fma_f32 v15, v74, v21, -v1
	v_fmac_f32_e32 v12, v59, v17
	v_fmac_f32_e32 v25, v73, v21
	v_add_f32_e32 v1, v89, v90
	v_add_f32_e32 v16, v0, v3
	;; [unrolled: 1-line block ×5, first 2 shown]
	v_sub_f32_e32 v21, v89, v90
	v_add_f32_e32 v22, v67, v91
	v_add_f32_e32 v26, v68, v4
	;; [unrolled: 1-line block ×4, first 2 shown]
	v_sub_f32_e32 v56, v91, v92
	v_add_f32_e32 v58, v7, v10
	v_add_f32_e32 v59, v5, v9
	v_add_f32_e32 v61, v72, v13
	v_sub_f32_e32 v62, v13, v11
	v_add_f32_e32 v63, v13, v11
	v_add_f32_e32 v13, v71, v2
	v_add_f32_e32 v74, v24, v14
	v_sub_f32_e32 v89, v14, v15
	v_add_f32_e32 v91, v14, v15
	v_add_f32_e32 v14, v23, v18
	v_add_f32_e32 v19, v66, v0
	v_sub_f32_e32 v20, v0, v3
	v_add_f32_e32 v64, v2, v12
	v_add_f32_e32 v93, v18, v25
	v_fma_f32 v0, -0.5, v1, v65
	v_fma_f32 v1, -0.5, v16, v66
	v_sub_f32_e32 v28, v4, v8
	v_fma_f32 v67, -0.5, v27, v67
	v_fmac_f32_e32 v68, -0.5, v53
	v_sub_f32_e32 v57, v7, v10
	v_sub_f32_e32 v60, v5, v9
	v_add_f32_e32 v5, v26, v8
	v_add_f32_e32 v8, v54, v10
	;; [unrolled: 1-line block ×6, first 2 shown]
	v_fma_f32 v13, -0.5, v59, v69
	v_fma_f32 v14, -0.5, v58, v70
	v_sub_f32_e32 v73, v2, v12
	v_sub_f32_e32 v94, v18, v25
	v_add_f32_e32 v2, v17, v90
	v_add_f32_e32 v3, v19, v3
	;; [unrolled: 1-line block ×3, first 2 shown]
	v_fma_f32 v71, -0.5, v64, v71
	v_fmac_f32_e32 v72, -0.5, v63
	v_fma_f32 v23, -0.5, v93, v23
	v_fmac_f32_e32 v24, -0.5, v91
	v_fmamk_f32 v15, v20, 0xbf5db3d7, v0
	v_fmamk_f32 v16, v21, 0x3f5db3d7, v1
	v_fmac_f32_e32 v0, 0x3f5db3d7, v20
	v_fmac_f32_e32 v1, 0xbf5db3d7, v21
	v_add_f32_e32 v4, v22, v92
	v_fmamk_f32 v17, v28, 0xbf5db3d7, v67
	v_fmamk_f32 v18, v56, 0x3f5db3d7, v68
	v_fmac_f32_e32 v67, 0x3f5db3d7, v28
	v_fmac_f32_e32 v68, 0xbf5db3d7, v56
	v_fmamk_f32 v19, v57, 0xbf5db3d7, v13
	v_fmamk_f32 v20, v60, 0x3f5db3d7, v14
	v_fmac_f32_e32 v13, 0x3f5db3d7, v57
	v_fmac_f32_e32 v14, 0xbf5db3d7, v60
	v_fmamk_f32 v21, v62, 0xbf5db3d7, v71
	v_fmac_f32_e32 v71, 0x3f5db3d7, v62
	v_fmamk_f32 v22, v73, 0x3f5db3d7, v72
	;; [unrolled: 2-line block ×4, first 2 shown]
	v_fmac_f32_e32 v24, 0xbf5db3d7, v94
	ds_write2_b64 v47, v[2:3], v[15:16] offset1:6
	ds_write_b64 v47, v[0:1] offset:96
	ds_write2_b64 v85, v[4:5], v[17:18] offset1:6
	ds_write_b64 v85, v[67:68] offset:96
	;; [unrolled: 2-line block ×5, first 2 shown]
	v_mul_lo_u16 v0, v78, 18
	v_sub_nc_u16 v1, v44, v79
	v_lshlrev_b32_sdwa v2, v46, v82 dst_sel:DWORD dst_unused:UNUSED_PAD src0_sel:DWORD src1_sel:WORD_0
	s_waitcnt lgkmcnt(0)
	s_barrier
	v_sub_nc_u16 v0, v45, v0
	v_lshlrev_b32_sdwa v3, v46, v1 dst_sel:DWORD dst_unused:UNUSED_PAD src0_sel:DWORD src1_sel:WORD_0
	buffer_gl0_inv
	s_clause 0x2
	global_load_dwordx4 v[7:10], v83, s[12:13] offset:128
	global_load_dwordx4 v[15:18], v2, s[12:13] offset:128
	;; [unrolled: 1-line block ×3, first 2 shown]
	v_lshlrev_b32_sdwa v2, v46, v0 dst_sel:DWORD dst_unused:UNUSED_PAD src0_sel:DWORD src1_sel:WORD_0
	s_clause 0x1
	global_load_dwordx4 v[19:22], v3, s[12:13] offset:128
	global_load_dwordx4 v[23:26], v2, s[12:13] offset:128
	v_mov_b32_e32 v2, 0x1b0
	v_mul_u32_u24_e32 v53, 0x1b0, v77
	v_lshlrev_b32_sdwa v28, v52, v80 dst_sel:DWORD dst_unused:UNUSED_PAD src0_sel:DWORD src1_sel:BYTE_0
	v_lshlrev_b32_sdwa v54, v52, v82 dst_sel:DWORD dst_unused:UNUSED_PAD src0_sel:DWORD src1_sel:WORD_0
	ds_read_b64 v[4:5], v48 offset:6048
	v_mul_u32_u24_sdwa v3, v76, v2 dst_sel:DWORD dst_unused:UNUSED_PAD src0_sel:WORD_0 src1_sel:DWORD
	v_mul_u32_u24_sdwa v27, v75, v2 dst_sel:DWORD dst_unused:UNUSED_PAD src0_sel:WORD_0 src1_sel:DWORD
	v_lshlrev_b32_sdwa v2, v52, v81 dst_sel:DWORD dst_unused:UNUSED_PAD src0_sel:DWORD src1_sel:BYTE_0
	ds_read2_b64 v[44:47], v42 offset0:108 offset1:234
	v_lshlrev_b32_sdwa v42, v52, v1 dst_sel:DWORD dst_unused:UNUSED_PAD src0_sel:DWORD src1_sel:WORD_0
	v_lshlrev_b32_sdwa v58, v52, v0 dst_sel:DWORD dst_unused:UNUSED_PAD src0_sel:DWORD src1_sel:WORD_0
	v_mul_u32_u24_e32 v57, 0x1b0, v78
	v_add3_u32 v71, 0, v3, v2
	ds_read2_b64 v[0:3], v41 offset0:120 offset1:246
	v_add3_u32 v72, 0, v27, v28
	ds_read2_b32 v[27:28], v6 offset0:228 offset1:229
	v_add3_u32 v73, 0, v53, v54
	ds_read2_b64 v[53:56], v40 offset0:104 offset1:230
	v_add3_u32 v29, 0, v29, v42
	v_add3_u32 v42, 0, v57, v58
	ds_read_b64 v[65:66], v48 offset:14112
	ds_read2_b64 v[57:60], v38 offset0:112 offset1:238
	ds_read2_b64 v[61:64], v48 offset1:126
	ds_read2_b64 v[38:41], v39 offset0:124 offset1:250
	v_add_nc_u32_e32 v67, 0x800, v48
	v_add_nc_u32_e32 v68, 0x1000, v48
	v_add_nc_u32_e32 v69, 0x2000, v48
	v_add_nc_u32_e32 v70, 0x2800, v48
	s_waitcnt vmcnt(0) lgkmcnt(0)
	s_barrier
	buffer_gl0_inv
	v_mul_f32_e32 v74, v8, v5
	v_mul_f32_e32 v8, v8, v4
	;; [unrolled: 1-line block ×20, first 2 shown]
	v_fmac_f32_e32 v74, v7, v4
	v_fma_f32 v4, v7, v5, -v8
	v_fmac_f32_e32 v76, v13, v44
	v_fma_f32 v7, v13, v45, -v14
	;; [unrolled: 2-line block ×10, first 2 shown]
	v_add_f32_e32 v12, v61, v77
	v_add_f32_e32 v13, v77, v76
	;; [unrolled: 1-line block ×12, first 2 shown]
	v_sub_f32_e32 v18, v2, v7
	v_sub_f32_e32 v19, v77, v76
	v_add_f32_e32 v17, v63, v74
	v_sub_f32_e32 v59, v11, v16
	v_add_f32_e32 v60, v1, v11
	v_add_f32_e32 v2, v12, v76
	v_fma_f32 v11, -0.5, v13, v61
	v_fma_f32 v12, -0.5, v15, v62
	v_sub_f32_e32 v21, v4, v5
	v_add_f32_e32 v22, v64, v4
	v_sub_f32_e32 v24, v74, v75
	v_fma_f32 v63, -0.5, v20, v63
	v_fmac_f32_e32 v64, -0.5, v23
	v_add_f32_e32 v25, v38, v78
	v_add_f32_e32 v27, v39, v3
	v_sub_f32_e32 v28, v3, v8
	v_add_f32_e32 v45, v41, v10
	v_add_f32_e32 v46, v40, v81
	v_sub_f32_e32 v47, v78, v79
	v_sub_f32_e32 v53, v10, v9
	;; [unrolled: 1-line block ×3, first 2 shown]
	v_add_f32_e32 v57, v0, v82
	v_sub_f32_e32 v66, v82, v83
	v_add_f32_e32 v3, v14, v7
	v_fma_f32 v13, -0.5, v26, v38
	v_fma_f32 v14, -0.5, v44, v39
	;; [unrolled: 1-line block ×3, first 2 shown]
	v_fmac_f32_e32 v41, -0.5, v54
	v_fma_f32 v0, -0.5, v58, v0
	v_fmac_f32_e32 v1, -0.5, v65
	v_add_f32_e32 v4, v17, v75
	v_fmamk_f32 v17, v18, 0xbf5db3d7, v11
	v_fmac_f32_e32 v11, 0x3f5db3d7, v18
	v_fmamk_f32 v18, v19, 0x3f5db3d7, v12
	v_fmac_f32_e32 v12, 0xbf5db3d7, v19
	v_add_f32_e32 v5, v22, v5
	v_fmamk_f32 v19, v21, 0xbf5db3d7, v63
	v_fmamk_f32 v20, v24, 0x3f5db3d7, v64
	v_fmac_f32_e32 v63, 0x3f5db3d7, v21
	v_fmac_f32_e32 v64, 0xbf5db3d7, v24
	v_add_f32_e32 v8, v27, v8
	v_add_f32_e32 v7, v25, v79
	;; [unrolled: 1-line block ×6, first 2 shown]
	v_fmamk_f32 v21, v28, 0xbf5db3d7, v13
	v_fmac_f32_e32 v13, 0x3f5db3d7, v28
	v_fmamk_f32 v22, v47, 0x3f5db3d7, v14
	v_fmac_f32_e32 v14, 0xbf5db3d7, v47
	v_fmamk_f32 v23, v53, 0xbf5db3d7, v40
	v_fmamk_f32 v24, v56, 0x3f5db3d7, v41
	;; [unrolled: 1-line block ×4, first 2 shown]
	v_fmac_f32_e32 v40, 0x3f5db3d7, v53
	v_fmac_f32_e32 v41, 0xbf5db3d7, v56
	;; [unrolled: 1-line block ×4, first 2 shown]
	ds_write2_b64 v71, v[2:3], v[17:18] offset1:18
	ds_write_b64 v71, v[11:12] offset:288
	ds_write2_b64 v72, v[4:5], v[19:20] offset1:18
	ds_write_b64 v72, v[63:64] offset:288
	;; [unrolled: 2-line block ×5, first 2 shown]
	s_waitcnt lgkmcnt(0)
	s_barrier
	buffer_gl0_inv
	ds_read2_b64 v[2:5], v48 offset1:126
	ds_read2_b64 v[26:29], v67 offset0:14 offset1:140
	ds_read2_b64 v[22:25], v68 offset0:28 offset1:154
	;; [unrolled: 1-line block ×6, first 2 shown]
                                        ; implicit-def: $vgpr39
                                        ; implicit-def: $vgpr41
                                        ; implicit-def: $vgpr47
                                        ; implicit-def: $vgpr45
                                        ; implicit-def: $vgpr43
	s_and_saveexec_b32 s1, s0
	s_cbranch_execz .LBB0_25
; %bb.24:
	ds_read_b64 v[0:1], v48 offset:2016
	ds_read_b64 v[36:37], v48 offset:4176
	;; [unrolled: 1-line block ×7, first 2 shown]
.LBB0_25:
	s_or_b32 exec_lo, exec_lo, s1
	v_mul_lo_u16 v50, v50, 19
	v_mul_lo_u16 v51, v51, 19
	v_mov_b32_e32 v57, 6
	v_mov_b32_e32 v79, 0xbd0
	v_lshrrev_b16 v50, 10, v50
	v_lshrrev_b16 v51, 10, v51
	v_mul_lo_u16 v53, v50, 54
	v_mul_lo_u16 v54, v51, 54
	v_mul_u32_u24_sdwa v50, v50, v79 dst_sel:DWORD dst_unused:UNUSED_PAD src0_sel:WORD_0 src1_sel:DWORD
	v_mul_u32_u24_sdwa v51, v51, v79 dst_sel:DWORD dst_unused:UNUSED_PAD src0_sel:WORD_0 src1_sel:DWORD
	v_sub_nc_u16 v77, v32, v53
	v_sub_nc_u16 v78, v49, v54
	v_mul_u32_u24_sdwa v53, v77, v57 dst_sel:DWORD dst_unused:UNUSED_PAD src0_sel:BYTE_0 src1_sel:DWORD
	v_mul_u32_u24_sdwa v62, v78, v57 dst_sel:DWORD dst_unused:UNUSED_PAD src0_sel:BYTE_0 src1_sel:DWORD
	v_lshlrev_b32_sdwa v77, v52, v77 dst_sel:DWORD dst_unused:UNUSED_PAD src0_sel:DWORD src1_sel:BYTE_0
	v_lshlrev_b32_sdwa v52, v52, v78 dst_sel:DWORD dst_unused:UNUSED_PAD src0_sel:DWORD src1_sel:BYTE_0
	v_lshlrev_b32_e32 v61, 3, v53
	v_lshlrev_b32_e32 v73, 3, v62
	v_add3_u32 v50, 0, v50, v77
	v_add3_u32 v51, 0, v51, v52
	s_clause 0x5
	global_load_dwordx4 v[53:56], v61, s[12:13] offset:416
	global_load_dwordx4 v[57:60], v61, s[12:13] offset:432
	;; [unrolled: 1-line block ×6, first 2 shown]
	v_add_nc_u32_e32 v52, 0x400, v50
	s_waitcnt vmcnt(0) lgkmcnt(0)
	s_barrier
	buffer_gl0_inv
	v_add_nc_u32_e32 v77, 0x400, v51
	v_mul_f32_e32 v82, v62, v7
	v_mul_f32_e32 v78, v54, v27
	;; [unrolled: 1-line block ×24, first 2 shown]
	v_fmac_f32_e32 v78, v53, v26
	v_fma_f32 v26, v53, v27, -v54
	v_fmac_f32_e32 v79, v55, v22
	v_fma_f32 v22, v55, v23, -v56
	;; [unrolled: 2-line block ×12, first 2 shown]
	v_add_f32_e32 v13, v78, v83
	v_add_f32_e32 v16, v26, v7
	v_add_f32_e32 v19, v79, v82
	v_add_f32_e32 v20, v22, v6
	v_sub_f32_e32 v7, v26, v7
	v_sub_f32_e32 v21, v79, v82
	;; [unrolled: 1-line block ×3, first 2 shown]
	v_add_f32_e32 v22, v80, v81
	v_add_f32_e32 v23, v18, v10
	v_sub_f32_e32 v24, v81, v80
	v_sub_f32_e32 v10, v10, v18
	v_add_f32_e32 v18, v84, v89
	v_add_f32_e32 v25, v11, v9
	v_sub_f32_e32 v9, v11, v9
	v_add_f32_e32 v11, v85, v88
	v_add_f32_e32 v27, v14, v8
	v_sub_f32_e32 v17, v78, v83
	v_sub_f32_e32 v8, v14, v8
	v_add_f32_e32 v14, v86, v87
	v_add_f32_e32 v29, v15, v12
	v_sub_f32_e32 v12, v12, v15
	v_add_f32_e32 v15, v19, v13
	v_add_f32_e32 v54, v20, v16
	v_sub_f32_e32 v28, v85, v88
	v_sub_f32_e32 v53, v87, v86
	;; [unrolled: 1-line block ×8, first 2 shown]
	v_add_f32_e32 v57, v24, v21
	v_add_f32_e32 v58, v10, v6
	v_sub_f32_e32 v59, v24, v21
	v_sub_f32_e32 v60, v10, v6
	;; [unrolled: 1-line block ×3, first 2 shown]
	v_add_f32_e32 v61, v11, v18
	v_add_f32_e32 v62, v27, v25
	v_sub_f32_e32 v26, v84, v89
	v_sub_f32_e32 v21, v21, v17
	;; [unrolled: 1-line block ×8, first 2 shown]
	v_add_f32_e32 v66, v12, v8
	v_sub_f32_e32 v68, v12, v8
	v_sub_f32_e32 v8, v8, v9
	v_add_f32_e32 v15, v22, v15
	v_add_f32_e32 v22, v23, v54
	v_sub_f32_e32 v24, v17, v24
	v_sub_f32_e32 v10, v7, v10
	v_add_f32_e32 v65, v53, v28
	v_sub_f32_e32 v67, v53, v28
	v_add_f32_e32 v17, v57, v17
	v_add_f32_e32 v7, v58, v7
	v_mul_f32_e32 v13, 0x3f4a47b2, v13
	v_mul_f32_e32 v16, 0x3f4a47b2, v16
	;; [unrolled: 1-line block ×7, first 2 shown]
	v_add_f32_e32 v14, v14, v61
	v_add_f32_e32 v29, v29, v62
	v_sub_f32_e32 v12, v9, v12
	v_sub_f32_e32 v28, v28, v26
	v_mul_f32_e32 v59, 0xbf5ff5aa, v21
	v_add_f32_e32 v9, v66, v9
	v_mul_f32_e32 v18, 0x3f4a47b2, v18
	v_mul_f32_e32 v25, 0x3f4a47b2, v25
	;; [unrolled: 1-line block ×6, first 2 shown]
	v_add_f32_e32 v2, v15, v2
	v_add_f32_e32 v3, v22, v3
	v_sub_f32_e32 v53, v26, v53
	v_add_f32_e32 v26, v65, v26
	v_mul_f32_e32 v65, 0x3f08b237, v67
	v_fmamk_f32 v19, v19, 0x3d64c772, v13
	v_fmamk_f32 v20, v20, 0x3d64c772, v16
	v_fma_f32 v23, 0x3f3bfb3b, v55, -v23
	v_fma_f32 v54, 0x3f3bfb3b, v56, -v54
	;; [unrolled: 1-line block ×4, first 2 shown]
	v_fmamk_f32 v55, v24, 0xbeae86e6, v57
	v_fmamk_f32 v56, v10, 0xbeae86e6, v58
	v_fma_f32 v21, 0xbf5ff5aa, v21, -v57
	v_fma_f32 v57, 0xbf5ff5aa, v6, -v58
	;; [unrolled: 1-line block ×3, first 2 shown]
	v_add_f32_e32 v4, v14, v4
	v_add_f32_e32 v5, v29, v5
	v_mul_f32_e32 v67, 0xbf5ff5aa, v28
	v_fma_f32 v24, 0x3eae86e6, v24, -v59
	v_fmamk_f32 v6, v11, 0x3d64c772, v18
	v_fmamk_f32 v10, v27, 0x3d64c772, v25
	v_fma_f32 v11, 0x3f3bfb3b, v63, -v61
	v_fma_f32 v27, 0x3f3bfb3b, v64, -v62
	v_fmamk_f32 v60, v12, 0xbeae86e6, v66
	v_fma_f32 v61, 0xbf5ff5aa, v8, -v66
	v_fma_f32 v62, 0x3eae86e6, v12, -v68
	v_fmamk_f32 v8, v15, 0xbf955555, v2
	v_fmamk_f32 v12, v22, 0xbf955555, v3
	;; [unrolled: 1-line block ×3, first 2 shown]
	v_fmac_f32_e32 v56, 0xbee1c552, v7
	v_fmac_f32_e32 v57, 0xbee1c552, v7
	v_fmac_f32_e32 v58, 0xbee1c552, v7
	v_fmamk_f32 v7, v14, 0xbf955555, v4
	v_fmamk_f32 v14, v29, 0xbf955555, v5
	v_fma_f32 v18, 0xbf3bfb3b, v63, -v18
	v_fma_f32 v25, 0xbf3bfb3b, v64, -v25
	;; [unrolled: 1-line block ×4, first 2 shown]
	v_fmac_f32_e32 v55, 0xbee1c552, v17
	v_fmac_f32_e32 v21, 0xbee1c552, v17
	;; [unrolled: 1-line block ×3, first 2 shown]
	v_add_f32_e32 v17, v19, v8
	v_add_f32_e32 v19, v20, v12
	;; [unrolled: 1-line block ×6, first 2 shown]
	v_fmac_f32_e32 v59, 0xbee1c552, v26
	v_fmac_f32_e32 v60, 0xbee1c552, v9
	v_add_f32_e32 v29, v6, v7
	v_add_f32_e32 v54, v10, v14
	v_fmac_f32_e32 v28, 0xbee1c552, v26
	v_fmac_f32_e32 v61, 0xbee1c552, v9
	;; [unrolled: 1-line block ×4, first 2 shown]
	v_add_f32_e32 v26, v11, v7
	v_add_f32_e32 v27, v27, v14
	;; [unrolled: 1-line block ×5, first 2 shown]
	v_sub_f32_e32 v7, v19, v55
	v_add_f32_e32 v8, v58, v22
	v_sub_f32_e32 v9, v16, v24
	v_sub_f32_e32 v10, v15, v57
	v_add_f32_e32 v11, v21, v20
	v_add_f32_e32 v12, v57, v15
	v_sub_f32_e32 v13, v20, v21
	v_sub_f32_e32 v14, v22, v58
	v_add_f32_e32 v15, v24, v16
	v_sub_f32_e32 v16, v17, v56
	v_add_f32_e32 v17, v55, v19
	v_add_f32_e32 v18, v60, v29
	v_sub_f32_e32 v19, v54, v59
	v_add_f32_e32 v20, v62, v63
	v_sub_f32_e32 v21, v64, v53
	v_sub_f32_e32 v22, v26, v61
	v_add_f32_e32 v23, v28, v27
	v_add_f32_e32 v24, v61, v26
	v_sub_f32_e32 v25, v27, v28
	v_sub_f32_e32 v26, v63, v62
	v_add_f32_e32 v27, v53, v64
	v_sub_f32_e32 v28, v29, v60
	v_add_f32_e32 v29, v59, v54
	ds_write2_b64 v50, v[2:3], v[6:7] offset1:54
	ds_write2_b64 v50, v[8:9], v[10:11] offset0:108 offset1:162
	ds_write2_b64 v52, v[12:13], v[14:15] offset0:88 offset1:142
	ds_write_b64 v50, v[16:17] offset:2592
	ds_write2_b64 v51, v[4:5], v[18:19] offset1:54
	ds_write2_b64 v51, v[20:21], v[22:23] offset0:108 offset1:162
	ds_write2_b64 v77, v[24:25], v[26:27] offset0:88 offset1:142
	ds_write_b64 v51, v[28:29] offset:2592
	s_and_saveexec_b32 s1, s0
	s_cbranch_execz .LBB0_27
; %bb.26:
	v_lshrrev_b16 v2, 1, v33
	v_mov_b32_e32 v3, 0x97b5
	v_mul_u32_u24_sdwa v2, v2, v3 dst_sel:DWORD dst_unused:UNUSED_PAD src0_sel:WORD_0 src1_sel:DWORD
	v_lshrrev_b32_e32 v2, 20, v2
	v_mul_lo_u16 v2, v2, 54
	v_sub_nc_u16 v2, v33, v2
	v_and_b32_e32 v14, 0xffff, v2
	v_mul_u32_u24_e32 v2, 6, v14
	v_lshl_add_u32 v14, v14, 3, 0
	v_lshlrev_b32_e32 v10, 3, v2
	v_add_nc_u32_e32 v15, 0x2c00, v14
	v_add_nc_u32_e32 v16, 0x3000, v14
	s_clause 0x2
	global_load_dwordx4 v[2:5], v10, s[12:13] offset:416
	global_load_dwordx4 v[6:9], v10, s[12:13] offset:448
	global_load_dwordx4 v[10:13], v10, s[12:13] offset:432
	s_waitcnt vmcnt(2)
	v_mul_f32_e32 v17, v37, v3
	s_waitcnt vmcnt(1)
	v_mul_f32_e32 v18, v47, v9
	;; [unrolled: 2-line block ×3, first 2 shown]
	v_mul_f32_e32 v20, v43, v11
	v_mul_f32_e32 v21, v39, v5
	;; [unrolled: 1-line block ×9, first 2 shown]
	v_fmac_f32_e32 v17, v36, v2
	v_fmac_f32_e32 v18, v46, v8
	;; [unrolled: 1-line block ×6, first 2 shown]
	v_fma_f32 v8, v47, v8, -v9
	v_fma_f32 v2, v37, v2, -v3
	;; [unrolled: 1-line block ×6, first 2 shown]
	v_sub_f32_e32 v5, v17, v18
	v_sub_f32_e32 v7, v19, v20
	v_add_f32_e32 v11, v2, v8
	v_add_f32_e32 v13, v4, v6
	v_add_f32_e32 v17, v17, v18
	v_add_f32_e32 v18, v20, v19
	v_add_f32_e32 v19, v21, v22
	v_sub_f32_e32 v10, v21, v22
	v_add_f32_e32 v12, v3, v9
	v_sub_f32_e32 v2, v2, v8
	v_sub_f32_e32 v3, v9, v3
	;; [unrolled: 1-line block ×3, first 2 shown]
	v_add_f32_e32 v21, v13, v11
	v_add_f32_e32 v24, v19, v17
	v_sub_f32_e32 v6, v5, v7
	v_sub_f32_e32 v8, v7, v10
	v_add_f32_e32 v7, v7, v10
	v_sub_f32_e32 v9, v11, v12
	v_sub_f32_e32 v20, v12, v13
	;; [unrolled: 1-line block ×6, first 2 shown]
	v_add_f32_e32 v3, v3, v4
	v_sub_f32_e32 v10, v10, v5
	v_sub_f32_e32 v4, v4, v2
	v_add_f32_e32 v12, v12, v21
	v_add_f32_e32 v18, v18, v24
	v_sub_f32_e32 v11, v13, v11
	v_sub_f32_e32 v13, v19, v17
	v_mul_f32_e32 v8, 0x3f08b237, v8
	v_add_f32_e32 v5, v7, v5
	v_mul_f32_e32 v7, 0x3f4a47b2, v9
	v_mul_f32_e32 v9, 0x3d64c772, v20
	;; [unrolled: 1-line block ×4, first 2 shown]
	v_add_f32_e32 v2, v3, v2
	v_mul_f32_e32 v3, 0xbf5ff5aa, v10
	v_mul_f32_e32 v22, 0xbf5ff5aa, v4
	v_add_f32_e32 v1, v1, v12
	v_add_f32_e32 v0, v0, v18
	v_mul_f32_e32 v19, 0x3d64c772, v23
	v_fmamk_f32 v24, v6, 0xbeae86e6, v8
	v_fmamk_f32 v20, v20, 0x3d64c772, v7
	;; [unrolled: 1-line block ×4, first 2 shown]
	v_fma_f32 v6, 0x3eae86e6, v6, -v3
	v_fma_f32 v3, 0xbf3bfb3b, v11, -v7
	;; [unrolled: 1-line block ×7, first 2 shown]
	v_fmamk_f32 v10, v12, 0xbf955555, v1
	v_fmamk_f32 v11, v18, 0xbf955555, v0
	v_fma_f32 v4, 0x3f3bfb3b, v13, -v19
	v_fmac_f32_e32 v24, 0xbee1c552, v5
	v_fmac_f32_e32 v26, 0xbee1c552, v2
	;; [unrolled: 1-line block ×5, first 2 shown]
	v_add_f32_e32 v2, v20, v10
	v_add_f32_e32 v18, v23, v11
	;; [unrolled: 1-line block ×3, first 2 shown]
	v_fmac_f32_e32 v8, 0xbee1c552, v5
	v_add_f32_e32 v19, v7, v11
	v_add_f32_e32 v9, v9, v10
	v_add_f32_e32 v20, v4, v11
	v_add_f32_e32 v5, v6, v12
	v_sub_f32_e32 v11, v12, v6
	v_sub_f32_e32 v13, v2, v24
	v_add_f32_e32 v12, v26, v18
	v_sub_f32_e32 v7, v9, v8
	v_add_f32_e32 v9, v8, v9
	;; [unrolled: 2-line block ×4, first 2 shown]
	v_add_f32_e32 v3, v24, v2
	v_sub_f32_e32 v2, v18, v26
	ds_write2_b64 v15, v[0:1], v[12:13] offset0:104 offset1:158
	ds_write2_b64 v16, v[10:11], v[8:9] offset0:84 offset1:138
	;; [unrolled: 1-line block ×3, first 2 shown]
	ds_write_b64 v14, v[2:3] offset:14688
.LBB0_27:
	s_or_b32 exec_lo, exec_lo, s1
	v_lshlrev_b32_e32 v7, 2, v32
	v_mov_b32_e32 v8, 0
	s_waitcnt lgkmcnt(0)
	s_barrier
	buffer_gl0_inv
	v_add_nc_u32_e32 v9, 0x400, v48
	v_lshlrev_b64 v[0:1], 3, v[7:8]
	v_lshlrev_b32_e32 v7, 2, v49
	v_add_nc_u32_e32 v10, 0x2800, v48
	v_add_nc_u32_e32 v29, 0x1800, v48
	;; [unrolled: 1-line block ×4, first 2 shown]
	v_add_co_u32 v4, s0, s12, v0
	v_add_co_ci_u32_e64 v5, s0, s13, v1, s0
	v_lshlrev_b64 v[0:1], 3, v[7:8]
	v_add_co_u32 v2, s0, 0x800, v4
	v_add_co_ci_u32_e64 v3, s0, 0, v5, s0
	v_add_co_u32 v4, s0, 0xbc0, v4
	v_add_co_ci_u32_e64 v5, s0, 0, v5, s0
	global_load_dwordx4 v[11:14], v[2:3], off offset:960
	v_lshlrev_b32_e32 v7, 2, v33
	v_add_nc_u32_e32 v33, 0x3000, v48
	global_load_dwordx4 v[15:18], v[4:5], off offset:16
	v_add_co_u32 v2, s0, s12, v0
	v_add_co_ci_u32_e64 v3, s0, s13, v1, s0
	v_lshlrev_b64 v[4:5], 3, v[7:8]
	v_add_co_u32 v0, s0, 0x800, v2
	v_add_co_ci_u32_e64 v1, s0, 0, v3, s0
	v_add_co_u32 v2, s0, 0xbc0, v2
	v_add_co_ci_u32_e64 v3, s0, 0, v3, s0
	s_clause 0x1
	global_load_dwordx4 v[19:22], v[0:1], off offset:960
	global_load_dwordx4 v[23:26], v[2:3], off offset:16
	v_add_co_u32 v2, s0, s12, v4
	v_add_co_ci_u32_e64 v3, s0, s13, v5, s0
	v_add_nc_u32_e32 v4, 0x1000, v48
	v_add_co_u32 v0, s0, 0x800, v2
	v_add_co_ci_u32_e64 v1, s0, 0, v3, s0
	v_add_co_u32 v2, s0, 0xbc0, v2
	v_add_co_ci_u32_e64 v3, s0, 0, v3, s0
	s_clause 0x1
	global_load_dwordx4 v[36:39], v[0:1], off offset:960
	global_load_dwordx4 v[40:43], v[2:3], off offset:16
	v_add_nc_u32_e32 v5, 0x2000, v48
	ds_read2_b64 v[0:3], v9 offset0:124 offset1:250
	ds_read2_b64 v[44:47], v4 offset0:118 offset1:244
	;; [unrolled: 1-line block ×3, first 2 shown]
	ds_read2_b64 v[4:7], v48 offset1:126
	ds_read2_b64 v[53:56], v10 offset0:106 offset1:232
	v_add_nc_u32_e32 v10, 0xc00, v48
	ds_read2_b32 v[27:28], v10 offset0:240 offset1:241
	ds_read2_b64 v[57:60], v29 offset0:114 offset1:240
	ds_read2_b64 v[61:64], v33 offset0:102 offset1:228
	v_add_nc_u32_e32 v67, 0x1c00, v48
	v_add_nc_u32_e32 v68, 0x2400, v48
	s_waitcnt vmcnt(0) lgkmcnt(0)
	s_barrier
	buffer_gl0_inv
	v_mul_f32_e32 v29, v12, v3
	v_mul_f32_e32 v12, v12, v2
	;; [unrolled: 1-line block ×8, first 2 shown]
	v_fmac_f32_e32 v29, v11, v2
	v_fma_f32 v2, v11, v3, -v12
	v_fmac_f32_e32 v33, v13, v46
	v_fma_f32 v3, v13, v47, -v14
	;; [unrolled: 2-line block ×4, first 2 shown]
	v_sub_f32_e32 v50, v33, v29
	v_sub_f32_e32 v56, v33, v69
	v_mul_f32_e32 v11, v28, v20
	v_mul_f32_e32 v13, v20, v27
	;; [unrolled: 1-line block ×8, first 2 shown]
	v_fmac_f32_e32 v11, v19, v27
	v_fma_f32 v13, v28, v19, -v13
	v_fmac_f32_e32 v15, v57, v21
	v_fma_f32 v19, v58, v21, -v14
	;; [unrolled: 2-line block ×4, first 2 shown]
	v_mul_f32_e32 v17, v45, v37
	v_mul_f32_e32 v14, v44, v37
	;; [unrolled: 1-line block ×8, first 2 shown]
	v_add_f32_e32 v25, v4, v29
	v_add_f32_e32 v28, v33, v69
	v_sub_f32_e32 v43, v29, v33
	v_sub_f32_e32 v47, v70, v69
	v_add_f32_e32 v49, v29, v70
	v_sub_f32_e32 v51, v69, v70
	v_add_f32_e32 v52, v5, v2
	v_add_f32_e32 v55, v3, v12
	;; [unrolled: 1-line block ×3, first 2 shown]
	v_sub_f32_e32 v62, v3, v2
	v_sub_f32_e32 v71, v12, v18
	;; [unrolled: 1-line block ×6, first 2 shown]
	v_fmac_f32_e32 v17, v44, v36
	v_fma_f32 v36, v45, v36, -v14
	v_fmac_f32_e32 v23, v59, v38
	v_fma_f32 v38, v60, v38, -v16
	;; [unrolled: 2-line block ×4, first 2 shown]
	v_add_f32_e32 v14, v25, v33
	v_fma_f32 v2, -0.5, v28, v4
	v_add_f32_e32 v25, v43, v47
	v_fma_f32 v4, -0.5, v49, v4
	v_add_f32_e32 v28, v50, v51
	v_add_f32_e32 v16, v52, v3
	v_fma_f32 v3, -0.5, v55, v5
	v_fma_f32 v5, -0.5, v61, v5
	v_add_f32_e32 v21, v6, v11
	v_add_f32_e32 v24, v15, v20
	v_sub_f32_e32 v47, v11, v15
	v_sub_f32_e32 v49, v46, v20
	;; [unrolled: 1-line block ×4, first 2 shown]
	v_add_f32_e32 v53, v7, v13
	v_add_f32_e32 v43, v62, v71
	v_sub_f32_e32 v61, v19, v13
	v_sub_f32_e32 v62, v22, v26
	v_add_f32_e32 v50, v11, v46
	v_add_f32_e32 v54, v19, v22
	;; [unrolled: 1-line block ×3, first 2 shown]
	v_sub_f32_e32 v29, v29, v70
	v_add_f32_e32 v33, v57, v58
	v_sub_f32_e32 v44, v13, v26
	v_sub_f32_e32 v55, v11, v46
	;; [unrolled: 1-line block ×5, first 2 shown]
	v_add_f32_e32 v63, v14, v69
	v_fmamk_f32 v11, v37, 0xbf737871, v2
	v_fmac_f32_e32 v2, 0x3f737871, v37
	v_fmamk_f32 v13, v41, 0x3f737871, v4
	v_fmac_f32_e32 v4, 0xbf737871, v41
	;; [unrolled: 2-line block ×3, first 2 shown]
	v_add_f32_e32 v21, v21, v15
	v_fma_f32 v15, -0.5, v24, v6
	v_add_f32_e32 v47, v47, v49
	v_add_f32_e32 v49, v51, v52
	;; [unrolled: 1-line block ×9, first 2 shown]
	v_sub_f32_e32 v45, v19, v22
	v_add_f32_e32 v64, v16, v12
	v_fma_f32 v6, -0.5, v50, v6
	v_fma_f32 v16, -0.5, v54, v7
	v_fmac_f32_e32 v7, -0.5, v60
	v_fmamk_f32 v12, v29, 0x3f737871, v3
	v_fmac_f32_e32 v3, 0xbf737871, v29
	v_add_f32_e32 v71, v1, v36
	v_add_f32_e32 v50, v58, v59
	v_sub_f32_e32 v54, v36, v42
	v_sub_f32_e32 v59, v17, v23
	;; [unrolled: 1-line block ×5, first 2 shown]
	v_fmac_f32_e32 v11, 0xbf167918, v41
	v_fmac_f32_e32 v2, 0x3f167918, v41
	;; [unrolled: 1-line block ×6, first 2 shown]
	v_add_f32_e32 v29, v21, v20
	v_add_f32_e32 v37, v24, v22
	;; [unrolled: 1-line block ×3, first 2 shown]
	v_fma_f32 v23, -0.5, v53, v0
	v_fma_f32 v24, -0.5, v72, v1
	v_sub_f32_e32 v58, v38, v40
	v_sub_f32_e32 v60, v39, v27
	;; [unrolled: 1-line block ×5, first 2 shown]
	v_fma_f32 v0, -0.5, v61, v0
	v_fmac_f32_e32 v1, -0.5, v77
	v_fmamk_f32 v21, v45, 0x3f737871, v6
	v_fmamk_f32 v22, v57, 0xbf737871, v7
	;; [unrolled: 1-line block ×3, first 2 shown]
	v_fmac_f32_e32 v15, 0x3f737871, v44
	v_fmamk_f32 v20, v55, 0x3f737871, v16
	v_fmac_f32_e32 v16, 0xbf737871, v55
	v_fmac_f32_e32 v12, 0x3f167918, v56
	;; [unrolled: 1-line block ×3, first 2 shown]
	v_add_f32_e32 v38, v71, v38
	v_sub_f32_e32 v69, v27, v39
	v_sub_f32_e32 v76, v42, v40
	v_fmac_f32_e32 v11, 0x3e9e377a, v25
	v_fmac_f32_e32 v2, 0x3e9e377a, v25
	;; [unrolled: 1-line block ×4, first 2 shown]
	v_add_f32_e32 v25, v29, v46
	v_add_f32_e32 v29, v41, v27
	v_fmamk_f32 v27, v54, 0xbf737871, v23
	v_fmamk_f32 v28, v73, 0x3f737871, v24
	v_add_f32_e32 v52, v59, v60
	v_add_f32_e32 v59, v36, v78
	;; [unrolled: 1-line block ×3, first 2 shown]
	v_fmamk_f32 v36, v58, 0x3f737871, v0
	v_fmamk_f32 v37, v74, 0xbf737871, v1
	v_fmac_f32_e32 v6, 0xbf737871, v45
	v_fmac_f32_e32 v7, 0x3f737871, v57
	;; [unrolled: 1-line block ×12, first 2 shown]
	v_add_f32_e32 v33, v38, v40
	v_add_f32_e32 v56, v75, v76
	v_fmac_f32_e32 v19, 0xbf167918, v45
	v_fmac_f32_e32 v20, 0x3f167918, v57
	;; [unrolled: 1-line block ×4, first 2 shown]
	v_add_f32_e32 v53, v62, v69
	v_fmac_f32_e32 v36, 0xbf167918, v54
	v_fmac_f32_e32 v37, 0x3f167918, v73
	v_add_f32_e32 v17, v63, v70
	v_add_f32_e32 v18, v64, v18
	v_fmac_f32_e32 v14, 0x3e9e377a, v43
	v_fmac_f32_e32 v6, 0x3f167918, v44
	;; [unrolled: 1-line block ×11, first 2 shown]
	v_add_f32_e32 v38, v29, v39
	v_add_f32_e32 v39, v33, v42
	v_fmac_f32_e32 v19, 0x3e9e377a, v47
	v_fmac_f32_e32 v20, 0x3e9e377a, v50
	;; [unrolled: 1-line block ×9, first 2 shown]
	ds_write2_b64 v48, v[17:18], v[25:26] offset1:126
	v_fmac_f32_e32 v23, 0x3e9e377a, v52
	v_fmac_f32_e32 v0, 0x3e9e377a, v53
	;; [unrolled: 1-line block ×4, first 2 shown]
	ds_write2_b64 v65, v[13:14], v[21:22] offset0:116 offset1:242
	ds_write2_b64 v66, v[2:3], v[15:16] offset0:104 offset1:230
	;; [unrolled: 1-line block ×6, first 2 shown]
	ds_write_b64 v48, v[23:24] offset:14112
	s_waitcnt lgkmcnt(0)
	s_barrier
	buffer_gl0_inv
	s_and_saveexec_b32 s0, vcc_lo
	s_cbranch_execz .LBB0_29
; %bb.28:
	v_mul_lo_u32 v2, s3, v34
	v_mul_lo_u32 v3, s2, v35
	v_mad_u64_u32 v[0:1], null, s2, v34, 0
	v_lshl_add_u32 v6, v32, 3, 0
	v_mov_b32_e32 v33, v8
	v_lshlrev_b64 v[9:10], 3, v[30:31]
	v_add_nc_u32_e32 v7, 0x7e, v32
	v_add_nc_u32_e32 v19, 0x1c00, v6
	v_add3_u32 v1, v1, v3, v2
	v_lshlrev_b64 v[11:12], 3, v[32:33]
	v_lshlrev_b64 v[13:14], 3, v[7:8]
	v_add_nc_u32_e32 v7, 0xfc, v32
	v_lshlrev_b64 v[4:5], 3, v[0:1]
	ds_read2_b64 v[0:3], v6 offset1:126
	v_lshlrev_b64 v[15:16], 3, v[7:8]
	v_add_nc_u32_e32 v7, 0x17a, v32
	v_add_co_u32 v4, vcc_lo, s10, v4
	v_add_co_ci_u32_e32 v5, vcc_lo, s11, v5, vcc_lo
	v_add_co_u32 v21, vcc_lo, v4, v9
	v_add_co_ci_u32_e32 v22, vcc_lo, v5, v10, vcc_lo
	v_add_nc_u32_e32 v9, 0x400, v6
	v_add_co_u32 v4, vcc_lo, v21, v11
	v_add_co_ci_u32_e32 v5, vcc_lo, v22, v12, vcc_lo
	ds_read2_b64 v[9:12], v9 offset0:124 offset1:250
	v_add_co_u32 v13, vcc_lo, v21, v13
	v_add_co_ci_u32_e32 v14, vcc_lo, v22, v14, vcc_lo
	s_waitcnt lgkmcnt(1)
	global_store_dwordx2 v[4:5], v[0:1], off
	global_store_dwordx2 v[13:14], v[2:3], off
	v_lshlrev_b64 v[0:1], 3, v[7:8]
	v_add_co_u32 v2, vcc_lo, v21, v15
	v_add_co_ci_u32_e32 v3, vcc_lo, v22, v16, vcc_lo
	v_add_nc_u32_e32 v7, 0x1f8, v32
	v_add_co_u32 v0, vcc_lo, v21, v0
	v_add_co_ci_u32_e32 v1, vcc_lo, v22, v1, vcc_lo
	v_add_nc_u32_e32 v13, 0xc00, v6
	v_lshlrev_b64 v[4:5], 3, v[7:8]
	s_waitcnt lgkmcnt(0)
	global_store_dwordx2 v[2:3], v[9:10], off
	v_add_nc_u32_e32 v9, 0x1400, v6
	v_add_nc_u32_e32 v7, 0x276, v32
	global_store_dwordx2 v[0:1], v[11:12], off
	ds_read2_b64 v[0:3], v13 offset0:120 offset1:246
	v_add_co_u32 v4, vcc_lo, v21, v4
	ds_read2_b64 v[9:12], v9 offset0:116 offset1:242
	v_lshlrev_b64 v[13:14], 3, v[7:8]
	v_add_nc_u32_e32 v7, 0x2f4, v32
	v_add_co_ci_u32_e32 v5, vcc_lo, v22, v5, vcc_lo
	v_lshlrev_b64 v[15:16], 3, v[7:8]
	v_add_co_u32 v13, vcc_lo, v21, v13
	v_add_co_ci_u32_e32 v14, vcc_lo, v22, v14, vcc_lo
	v_add_nc_u32_e32 v7, 0x372, v32
	v_add_co_u32 v15, vcc_lo, v21, v15
	v_add_co_ci_u32_e32 v16, vcc_lo, v22, v16, vcc_lo
	v_lshlrev_b64 v[17:18], 3, v[7:8]
	v_add_nc_u32_e32 v7, 0x3f0, v32
	s_waitcnt lgkmcnt(1)
	global_store_dwordx2 v[4:5], v[0:1], off
	global_store_dwordx2 v[13:14], v[2:3], off
	s_waitcnt lgkmcnt(0)
	global_store_dwordx2 v[15:16], v[9:10], off
	ds_read2_b64 v[0:3], v19 offset0:112 offset1:238
	v_lshlrev_b64 v[4:5], 3, v[7:8]
	v_add_nc_u32_e32 v7, 0x46e, v32
	v_add_co_u32 v9, vcc_lo, v21, v17
	v_add_co_ci_u32_e32 v10, vcc_lo, v22, v18, vcc_lo
	v_lshlrev_b64 v[13:14], 3, v[7:8]
	v_add_nc_u32_e32 v7, 0x4ec, v32
	v_add_co_u32 v4, vcc_lo, v21, v4
	v_add_co_ci_u32_e32 v5, vcc_lo, v22, v5, vcc_lo
	v_add_co_u32 v13, vcc_lo, v21, v13
	v_lshlrev_b64 v[15:16], 3, v[7:8]
	v_add_nc_u32_e32 v7, 0x56a, v32
	v_add_co_ci_u32_e32 v14, vcc_lo, v22, v14, vcc_lo
	v_add_nc_u32_e32 v17, 0x2400, v6
	global_store_dwordx2 v[9:10], v[11:12], off
	s_waitcnt lgkmcnt(0)
	global_store_dwordx2 v[4:5], v[0:1], off
	global_store_dwordx2 v[13:14], v[2:3], off
	v_lshlrev_b64 v[4:5], 3, v[7:8]
	v_add_nc_u32_e32 v7, 0x5e8, v32
	v_add_nc_u32_e32 v9, 0x2c00, v6
	v_add_co_u32 v13, vcc_lo, v21, v15
	ds_read2_b64 v[0:3], v17 offset0:108 offset1:234
	v_add_co_ci_u32_e32 v14, vcc_lo, v22, v16, vcc_lo
	v_lshlrev_b64 v[15:16], 3, v[7:8]
	v_add_nc_u32_e32 v7, 0x666, v32
	ds_read2_b64 v[9:12], v9 offset0:104 offset1:230
	ds_read_b64 v[17:18], v6 offset:14112
	v_add_co_u32 v4, vcc_lo, v21, v4
	v_lshlrev_b64 v[19:20], 3, v[7:8]
	v_add_nc_u32_e32 v7, 0x6e4, v32
	v_add_co_ci_u32_e32 v5, vcc_lo, v22, v5, vcc_lo
	v_add_co_u32 v15, vcc_lo, v21, v15
	v_lshlrev_b64 v[6:7], 3, v[7:8]
	v_add_co_ci_u32_e32 v16, vcc_lo, v22, v16, vcc_lo
	v_add_co_u32 v19, vcc_lo, v21, v19
	v_add_co_ci_u32_e32 v20, vcc_lo, v22, v20, vcc_lo
	v_add_co_u32 v6, vcc_lo, v21, v6
	v_add_co_ci_u32_e32 v7, vcc_lo, v22, v7, vcc_lo
	s_waitcnt lgkmcnt(2)
	global_store_dwordx2 v[13:14], v[0:1], off
	global_store_dwordx2 v[4:5], v[2:3], off
	s_waitcnt lgkmcnt(1)
	global_store_dwordx2 v[15:16], v[9:10], off
	global_store_dwordx2 v[19:20], v[11:12], off
	s_waitcnt lgkmcnt(0)
	global_store_dwordx2 v[6:7], v[17:18], off
.LBB0_29:
	s_endpgm
	.section	.rodata,"a",@progbits
	.p2align	6, 0x0
	.amdhsa_kernel fft_rtc_back_len1890_factors_2_3_3_3_7_5_wgs_126_tpt_126_halfLds_sp_op_CI_CI_unitstride_sbrr_C2R_dirReg
		.amdhsa_group_segment_fixed_size 0
		.amdhsa_private_segment_fixed_size 0
		.amdhsa_kernarg_size 104
		.amdhsa_user_sgpr_count 6
		.amdhsa_user_sgpr_private_segment_buffer 1
		.amdhsa_user_sgpr_dispatch_ptr 0
		.amdhsa_user_sgpr_queue_ptr 0
		.amdhsa_user_sgpr_kernarg_segment_ptr 1
		.amdhsa_user_sgpr_dispatch_id 0
		.amdhsa_user_sgpr_flat_scratch_init 0
		.amdhsa_user_sgpr_private_segment_size 0
		.amdhsa_wavefront_size32 1
		.amdhsa_uses_dynamic_stack 0
		.amdhsa_system_sgpr_private_segment_wavefront_offset 0
		.amdhsa_system_sgpr_workgroup_id_x 1
		.amdhsa_system_sgpr_workgroup_id_y 0
		.amdhsa_system_sgpr_workgroup_id_z 0
		.amdhsa_system_sgpr_workgroup_info 0
		.amdhsa_system_vgpr_workitem_id 0
		.amdhsa_next_free_vgpr 95
		.amdhsa_next_free_sgpr 27
		.amdhsa_reserve_vcc 1
		.amdhsa_reserve_flat_scratch 0
		.amdhsa_float_round_mode_32 0
		.amdhsa_float_round_mode_16_64 0
		.amdhsa_float_denorm_mode_32 3
		.amdhsa_float_denorm_mode_16_64 3
		.amdhsa_dx10_clamp 1
		.amdhsa_ieee_mode 1
		.amdhsa_fp16_overflow 0
		.amdhsa_workgroup_processor_mode 1
		.amdhsa_memory_ordered 1
		.amdhsa_forward_progress 0
		.amdhsa_shared_vgpr_count 0
		.amdhsa_exception_fp_ieee_invalid_op 0
		.amdhsa_exception_fp_denorm_src 0
		.amdhsa_exception_fp_ieee_div_zero 0
		.amdhsa_exception_fp_ieee_overflow 0
		.amdhsa_exception_fp_ieee_underflow 0
		.amdhsa_exception_fp_ieee_inexact 0
		.amdhsa_exception_int_div_zero 0
	.end_amdhsa_kernel
	.text
.Lfunc_end0:
	.size	fft_rtc_back_len1890_factors_2_3_3_3_7_5_wgs_126_tpt_126_halfLds_sp_op_CI_CI_unitstride_sbrr_C2R_dirReg, .Lfunc_end0-fft_rtc_back_len1890_factors_2_3_3_3_7_5_wgs_126_tpt_126_halfLds_sp_op_CI_CI_unitstride_sbrr_C2R_dirReg
                                        ; -- End function
	.section	.AMDGPU.csdata,"",@progbits
; Kernel info:
; codeLenInByte = 11700
; NumSgprs: 29
; NumVgprs: 95
; ScratchSize: 0
; MemoryBound: 0
; FloatMode: 240
; IeeeMode: 1
; LDSByteSize: 0 bytes/workgroup (compile time only)
; SGPRBlocks: 3
; VGPRBlocks: 11
; NumSGPRsForWavesPerEU: 29
; NumVGPRsForWavesPerEU: 95
; Occupancy: 10
; WaveLimiterHint : 1
; COMPUTE_PGM_RSRC2:SCRATCH_EN: 0
; COMPUTE_PGM_RSRC2:USER_SGPR: 6
; COMPUTE_PGM_RSRC2:TRAP_HANDLER: 0
; COMPUTE_PGM_RSRC2:TGID_X_EN: 1
; COMPUTE_PGM_RSRC2:TGID_Y_EN: 0
; COMPUTE_PGM_RSRC2:TGID_Z_EN: 0
; COMPUTE_PGM_RSRC2:TIDIG_COMP_CNT: 0
	.text
	.p2alignl 6, 3214868480
	.fill 48, 4, 3214868480
	.type	__hip_cuid_39351efef5e7be21,@object ; @__hip_cuid_39351efef5e7be21
	.section	.bss,"aw",@nobits
	.globl	__hip_cuid_39351efef5e7be21
__hip_cuid_39351efef5e7be21:
	.byte	0                               ; 0x0
	.size	__hip_cuid_39351efef5e7be21, 1

	.ident	"AMD clang version 19.0.0git (https://github.com/RadeonOpenCompute/llvm-project roc-6.4.0 25133 c7fe45cf4b819c5991fe208aaa96edf142730f1d)"
	.section	".note.GNU-stack","",@progbits
	.addrsig
	.addrsig_sym __hip_cuid_39351efef5e7be21
	.amdgpu_metadata
---
amdhsa.kernels:
  - .args:
      - .actual_access:  read_only
        .address_space:  global
        .offset:         0
        .size:           8
        .value_kind:     global_buffer
      - .offset:         8
        .size:           8
        .value_kind:     by_value
      - .actual_access:  read_only
        .address_space:  global
        .offset:         16
        .size:           8
        .value_kind:     global_buffer
      - .actual_access:  read_only
        .address_space:  global
        .offset:         24
        .size:           8
        .value_kind:     global_buffer
      - .actual_access:  read_only
        .address_space:  global
        .offset:         32
        .size:           8
        .value_kind:     global_buffer
      - .offset:         40
        .size:           8
        .value_kind:     by_value
      - .actual_access:  read_only
        .address_space:  global
        .offset:         48
        .size:           8
        .value_kind:     global_buffer
      - .actual_access:  read_only
        .address_space:  global
        .offset:         56
        .size:           8
        .value_kind:     global_buffer
      - .offset:         64
        .size:           4
        .value_kind:     by_value
      - .actual_access:  read_only
        .address_space:  global
        .offset:         72
        .size:           8
        .value_kind:     global_buffer
      - .actual_access:  read_only
        .address_space:  global
        .offset:         80
        .size:           8
        .value_kind:     global_buffer
      - .actual_access:  read_only
        .address_space:  global
        .offset:         88
        .size:           8
        .value_kind:     global_buffer
      - .actual_access:  write_only
        .address_space:  global
        .offset:         96
        .size:           8
        .value_kind:     global_buffer
    .group_segment_fixed_size: 0
    .kernarg_segment_align: 8
    .kernarg_segment_size: 104
    .language:       OpenCL C
    .language_version:
      - 2
      - 0
    .max_flat_workgroup_size: 126
    .name:           fft_rtc_back_len1890_factors_2_3_3_3_7_5_wgs_126_tpt_126_halfLds_sp_op_CI_CI_unitstride_sbrr_C2R_dirReg
    .private_segment_fixed_size: 0
    .sgpr_count:     29
    .sgpr_spill_count: 0
    .symbol:         fft_rtc_back_len1890_factors_2_3_3_3_7_5_wgs_126_tpt_126_halfLds_sp_op_CI_CI_unitstride_sbrr_C2R_dirReg.kd
    .uniform_work_group_size: 1
    .uses_dynamic_stack: false
    .vgpr_count:     95
    .vgpr_spill_count: 0
    .wavefront_size: 32
    .workgroup_processor_mode: 1
amdhsa.target:   amdgcn-amd-amdhsa--gfx1030
amdhsa.version:
  - 1
  - 2
...

	.end_amdgpu_metadata
